;; amdgpu-corpus repo=ROCm/rocFFT kind=compiled arch=gfx1030 opt=O3
	.text
	.amdgcn_target "amdgcn-amd-amdhsa--gfx1030"
	.amdhsa_code_object_version 6
	.protected	bluestein_single_back_len33_dim1_sp_op_CI_CI ; -- Begin function bluestein_single_back_len33_dim1_sp_op_CI_CI
	.globl	bluestein_single_back_len33_dim1_sp_op_CI_CI
	.p2align	8
	.type	bluestein_single_back_len33_dim1_sp_op_CI_CI,@function
bluestein_single_back_len33_dim1_sp_op_CI_CI: ; @bluestein_single_back_len33_dim1_sp_op_CI_CI
; %bb.0:
	s_load_dwordx4 s[0:3], s[4:5], 0x28
	v_mul_u32_u24_e32 v1, 0x1746, v0
	v_lshrrev_b32_e32 v1, 16, v1
	v_mad_u64_u32 v[36:37], null, s6, 23, v[1:2]
	v_mov_b32_e32 v37, 0
	s_waitcnt lgkmcnt(0)
	v_cmp_gt_u64_e32 vcc_lo, s[0:1], v[36:37]
	s_and_saveexec_b32 s0, vcc_lo
	s_cbranch_execz .LBB0_15
; %bb.1:
	v_mul_hi_u32 v2, 0xb21642c9, v36
	v_mul_lo_u16 v1, v1, 11
	s_clause 0x1
	s_load_dwordx2 s[12:13], s[4:5], 0x0
	s_load_dwordx2 s[6:7], s[4:5], 0x38
	v_sub_nc_u16 v0, v0, v1
	v_lshrrev_b32_e32 v2, 4, v2
	v_and_b32_e32 v43, 0xffff, v0
	v_cmp_gt_u16_e32 vcc_lo, 3, v0
	v_mul_lo_u32 v2, v2, 23
	v_lshlrev_b32_e32 v42, 3, v43
	v_or_b32_e32 v40, 12, v43
	v_or_b32_e32 v39, 24, v43
	v_sub_nc_u32_e32 v1, v36, v2
	v_mul_u32_u24_e32 v41, 33, v1
	v_lshlrev_b32_e32 v44, 3, v41
	s_and_saveexec_b32 s1, vcc_lo
	s_cbranch_execz .LBB0_3
; %bb.2:
	s_load_dwordx2 s[8:9], s[4:5], 0x18
	v_add_nc_u32_e32 v35, v44, v42
	s_waitcnt lgkmcnt(0)
	s_load_dwordx4 s[8:11], s[8:9], 0x0
	s_clause 0x2
	global_load_dwordx2 v[4:5], v42, s[12:13]
	global_load_dwordx2 v[6:7], v42, s[12:13] offset:24
	global_load_dwordx2 v[8:9], v42, s[12:13] offset:96
	s_waitcnt lgkmcnt(0)
	v_mad_u64_u32 v[0:1], null, s10, v36, 0
	v_mad_u64_u32 v[2:3], null, s8, v43, 0
	;; [unrolled: 1-line block ×3, first 2 shown]
	s_mul_i32 s0, s9, 24
	s_mul_hi_u32 s10, s8, 24
	s_add_i32 s10, s10, s0
	v_mad_u64_u32 v[12:13], null, s11, v36, v[1:2]
	v_mad_u64_u32 v[13:14], null, s8, v39, 0
	s_mul_i32 s11, s8, 24
	v_mov_b32_e32 v1, v12
	v_mov_b32_e32 v12, v14
	v_lshlrev_b64 v[0:1], 3, v[0:1]
	v_add_co_u32 v21, s0, s2, v0
	v_add_co_ci_u32_e64 v22, s0, s3, v1, s0
	s_mul_i32 s2, s9, 48
	s_waitcnt vmcnt(2)
	v_mad_u64_u32 v[15:16], null, s9, v43, v[3:4]
	v_mov_b32_e32 v3, v15
	v_mad_u64_u32 v[14:15], null, s9, v40, v[11:12]
	v_mad_u64_u32 v[15:16], null, s9, v39, v[12:13]
	v_lshlrev_b64 v[2:3], 3, v[2:3]
	v_mov_b32_e32 v11, v14
	v_add_co_u32 v0, s0, v21, v2
	v_add_co_ci_u32_e64 v1, s0, v22, v3, s0
	v_mov_b32_e32 v14, v15
	v_add_co_u32 v2, s0, v0, s11
	v_add_co_ci_u32_e64 v3, s0, s10, v1, s0
	v_lshlrev_b64 v[10:11], 3, v[10:11]
	v_add_co_u32 v15, s0, v2, s11
	v_add_co_ci_u32_e64 v16, s0, s10, v3, s0
	v_lshlrev_b64 v[12:13], 3, v[13:14]
	v_add_co_u32 v17, s0, v15, s11
	v_add_co_ci_u32_e64 v18, s0, s10, v16, s0
	v_add_co_u32 v10, s0, v21, v10
	v_add_co_ci_u32_e64 v11, s0, v22, v11, s0
	v_mad_u64_u32 v[19:20], null, s8, 48, v[17:18]
	v_add_co_u32 v12, s0, v21, v12
	v_add_co_ci_u32_e64 v13, s0, v22, v13, s0
	global_load_dwordx2 v[0:1], v[0:1], off
	global_load_dwordx2 v[21:22], v42, s[12:13] offset:192
	s_clause 0x1
	global_load_dwordx2 v[10:11], v[10:11], off
	global_load_dwordx2 v[14:15], v[15:16], off
	v_add_nc_u32_e32 v20, s2, v20
	v_add_co_u32 v23, s0, v19, s11
	s_clause 0x1
	global_load_dwordx2 v[12:13], v[12:13], off
	global_load_dwordx2 v[2:3], v[2:3], off
	v_add_co_ci_u32_e64 v24, s0, s10, v20, s0
	v_add_co_u32 v25, s0, v23, s11
	s_clause 0x1
	global_load_dwordx2 v[27:28], v42, s[12:13] offset:48
	global_load_dwordx2 v[29:30], v42, s[12:13] offset:72
	global_load_dwordx2 v[16:17], v[17:18], off
	v_add_co_ci_u32_e64 v26, s0, s10, v24, s0
	global_load_dwordx2 v[18:19], v[19:20], off
	s_clause 0x2
	global_load_dwordx2 v[33:34], v42, s[12:13] offset:120
	global_load_dwordx2 v[37:38], v42, s[12:13] offset:144
	;; [unrolled: 1-line block ×3, first 2 shown]
	global_load_dwordx2 v[23:24], v[23:24], off
	v_lshl_add_u32 v20, v43, 3, v44
	v_mad_u64_u32 v[31:32], null, s8, 48, v[25:26]
	global_load_dwordx2 v[25:26], v[25:26], off
	v_add_nc_u32_e32 v32, s2, v32
	v_add_co_u32 v47, s0, v31, s11
	v_add_co_ci_u32_e64 v48, s0, s10, v32, s0
	global_load_dwordx2 v[31:32], v[31:32], off
	s_clause 0x1
	global_load_dwordx2 v[49:50], v42, s[12:13] offset:216
	global_load_dwordx2 v[51:52], v42, s[12:13] offset:240
	global_load_dwordx2 v[47:48], v[47:48], off
	s_waitcnt vmcnt(18)
	v_mul_f32_e32 v54, v0, v5
	v_mul_f32_e32 v53, v1, v5
	s_waitcnt vmcnt(16)
	v_mul_f32_e32 v5, v10, v9
	v_mul_f32_e32 v55, v11, v9
	v_fma_f32 v54, v1, v4, -v54
	v_fmac_f32_e32 v53, v0, v4
	v_fma_f32 v56, v11, v8, -v5
	s_waitcnt vmcnt(13)
	v_mul_f32_e32 v0, v3, v7
	v_mul_f32_e32 v1, v2, v7
	;; [unrolled: 1-line block ×3, first 2 shown]
	s_waitcnt vmcnt(12)
	v_mul_f32_e32 v5, v14, v28
	v_mul_f32_e32 v22, v12, v22
	s_waitcnt vmcnt(10)
	v_mul_f32_e32 v7, v16, v30
	v_fmac_f32_e32 v55, v10, v8
	v_fmac_f32_e32 v0, v2, v6
	s_waitcnt vmcnt(5)
	v_mul_f32_e32 v8, v23, v38
	v_mul_f32_e32 v4, v17, v30
	v_fma_f32 v1, v3, v6, -v1
	v_mul_f32_e32 v6, v19, v34
	v_mul_f32_e32 v2, v15, v28
	v_fma_f32 v3, v15, v27, -v5
	v_fma_f32 v5, v17, v29, -v7
	v_mul_f32_e32 v7, v18, v34
	v_mul_f32_e32 v11, v24, v38
	v_fmac_f32_e32 v9, v12, v21
	v_fma_f32 v10, v13, v21, -v22
	s_waitcnt vmcnt(4)
	v_mul_f32_e32 v13, v26, v46
	v_fma_f32 v12, v24, v37, -v8
	v_mul_f32_e32 v8, v25, v46
	v_fmac_f32_e32 v4, v16, v29
	v_fmac_f32_e32 v6, v18, v33
	s_waitcnt vmcnt(2)
	v_mul_f32_e32 v15, v32, v50
	v_mul_f32_e32 v16, v31, v50
	s_waitcnt vmcnt(0)
	v_mul_f32_e32 v17, v48, v52
	v_mul_f32_e32 v18, v47, v52
	v_fmac_f32_e32 v2, v14, v27
	v_fma_f32 v7, v19, v33, -v7
	v_fmac_f32_e32 v11, v23, v37
	v_fmac_f32_e32 v13, v25, v45
	v_fma_f32 v14, v26, v45, -v8
	v_fmac_f32_e32 v15, v31, v49
	v_fma_f32 v16, v32, v49, -v16
	;; [unrolled: 2-line block ×3, first 2 shown]
	ds_write_b64 v20, v[53:54]
	ds_write2_b64 v35, v[0:1], v[2:3] offset0:3 offset1:6
	ds_write2_b64 v35, v[4:5], v[55:56] offset0:9 offset1:12
	;; [unrolled: 1-line block ×5, first 2 shown]
.LBB0_3:
	s_or_b32 exec_lo, exec_lo, s1
	s_clause 0x1
	s_load_dwordx2 s[0:1], s[4:5], 0x20
	s_load_dwordx2 s[4:5], s[4:5], 0x8
	v_mov_b32_e32 v4, 0
	v_mov_b32_e32 v5, 0
	s_waitcnt lgkmcnt(0)
	s_barrier
	buffer_gl0_inv
                                        ; implicit-def: $vgpr21
                                        ; implicit-def: $vgpr9
                                        ; implicit-def: $vgpr27
                                        ; implicit-def: $vgpr31
                                        ; implicit-def: $vgpr34
	s_and_saveexec_b32 s2, vcc_lo
	s_cbranch_execz .LBB0_5
; %bb.4:
	v_lshl_add_u32 v0, v41, 3, v42
	ds_read2_b64 v[4:7], v0 offset1:3
	ds_read2_b64 v[32:35], v0 offset0:6 offset1:9
	ds_read2_b64 v[20:23], v0 offset0:12 offset1:15
	;; [unrolled: 1-line block ×4, first 2 shown]
	ds_read_b64 v[8:9], v0 offset:240
.LBB0_5:
	s_or_b32 exec_lo, exec_lo, s2
	s_waitcnt lgkmcnt(0)
	v_sub_f32_e32 v13, v7, v9
	v_sub_f32_e32 v14, v6, v8
	v_add_f32_e32 v51, v8, v6
	v_add_f32_e32 v52, v9, v7
	v_sub_f32_e32 v15, v33, v27
	v_mul_f32_e32 v46, 0xbf0a6770, v13
	v_mul_f32_e32 v47, 0xbf0a6770, v14
	v_sub_f32_e32 v16, v32, v26
	v_add_f32_e32 v55, v26, v32
	v_add_f32_e32 v57, v27, v33
	v_fmamk_f32 v0, v51, 0x3f575c64, v46
	v_fma_f32 v1, 0x3f575c64, v52, -v47
	v_mul_f32_e32 v48, 0xbf68dda4, v15
	v_mul_f32_e32 v49, 0xbf68dda4, v16
	v_sub_f32_e32 v17, v35, v25
	v_sub_f32_e32 v19, v34, v24
	v_add_f32_e32 v0, v0, v4
	v_add_f32_e32 v1, v1, v5
	v_fmamk_f32 v2, v55, 0x3ed4b147, v48
	v_fma_f32 v3, 0x3ed4b147, v57, -v49
	v_add_f32_e32 v59, v24, v34
	v_add_f32_e32 v60, v25, v35
	v_mul_f32_e32 v50, 0xbf7d64f0, v17
	v_mul_f32_e32 v53, 0xbf7d64f0, v19
	v_add_f32_e32 v18, v20, v30
	v_sub_f32_e32 v45, v20, v30
	v_mul_f32_e32 v54, 0xbf68dda4, v13
	v_add_f32_e32 v0, v2, v0
	v_add_f32_e32 v1, v3, v1
	v_fmamk_f32 v2, v59, 0xbe11bafb, v50
	v_fma_f32 v3, 0xbe11bafb, v60, -v53
	v_sub_f32_e32 v65, v21, v31
	v_mul_f32_e32 v56, 0xbf27a4f4, v18
	v_add_f32_e32 v63, v21, v31
	v_mul_f32_e32 v58, 0xbf4178ce, v45
	v_add_f32_e32 v0, v2, v0
	v_add_f32_e32 v1, v3, v1
	v_fmamk_f32 v2, v65, 0xbf4178ce, v56
	v_fmamk_f32 v10, v51, 0x3ed4b147, v54
	v_fma_f32 v3, 0xbf27a4f4, v63, -v58
	v_mul_f32_e32 v69, 0xbf4178ce, v15
	v_mul_f32_e32 v72, 0xbf68dda4, v14
	v_add_f32_e32 v76, v22, v28
	v_sub_f32_e32 v77, v22, v28
	v_add_f32_e32 v0, v2, v0
	v_add_f32_e32 v1, v3, v1
	;; [unrolled: 1-line block ×3, first 2 shown]
	v_fmamk_f32 v3, v55, 0xbf27a4f4, v69
	v_fma_f32 v10, 0x3ed4b147, v52, -v72
	v_mul_f32_e32 v73, 0xbf4178ce, v16
	v_add_f32_e32 v68, v23, v29
	v_sub_f32_e32 v64, v23, v29
	v_mul_f32_e32 v61, 0xbf75a155, v76
	v_mul_f32_e32 v62, 0xbe903f40, v77
	v_add_f32_e32 v2, v3, v2
	v_add_f32_e32 v3, v10, v5
	v_fma_f32 v10, 0xbf27a4f4, v57, -v73
	v_mul_f32_e32 v71, 0x3e903f40, v19
	v_mul_f32_e32 v70, 0x3e903f40, v17
	v_fmamk_f32 v11, v64, 0xbe903f40, v61
	v_fma_f32 v38, 0xbf75a155, v68, -v62
	v_add_f32_e32 v3, v10, v3
	v_fma_f32 v10, 0xbf75a155, v60, -v71
	v_mul_f32_e32 v74, 0x3f7d64f0, v45
	v_fmamk_f32 v12, v59, 0xbf75a155, v70
	v_mul_f32_e32 v66, 0xbe11bafb, v18
	v_add_f32_e32 v37, v11, v0
	v_add_f32_e32 v38, v38, v1
	;; [unrolled: 1-line block ×3, first 2 shown]
	v_fma_f32 v1, 0xbe11bafb, v63, -v74
	v_add_f32_e32 v2, v12, v2
	v_fmamk_f32 v12, v65, 0x3f7d64f0, v66
	v_mul_f32_e32 v10, 0xbf7d64f0, v13
	v_mul_f32_e32 v67, 0x3f575c64, v76
	v_add_f32_e32 v0, v1, v0
	v_mul_f32_e32 v1, 0xbf7d64f0, v14
	v_add_f32_e32 v2, v12, v2
	v_mul_f32_e32 v75, 0x3f0a6770, v77
	v_fma_f32 v12, 0xbe11bafb, v51, -v10
	v_mul_f32_e32 v78, 0x3e903f40, v15
	v_fmamk_f32 v79, v52, 0xbe11bafb, v1
	v_mul_f32_e32 v80, 0x3e903f40, v16
	v_fmamk_f32 v3, v64, 0x3f0a6770, v67
	v_fma_f32 v11, 0x3f575c64, v68, -v75
	v_add_f32_e32 v12, v12, v4
	v_fma_f32 v81, 0xbf75a155, v55, -v78
	v_add_f32_e32 v79, v79, v5
	v_fmamk_f32 v82, v57, 0xbf75a155, v80
	v_mul_f32_e32 v83, 0x3f68dda4, v17
	v_add_f32_e32 v2, v3, v2
	v_add_f32_e32 v3, v11, v0
	v_mul_f32_e32 v0, 0x3f68dda4, v19
	v_add_f32_e32 v11, v81, v12
	v_add_f32_e32 v12, v82, v79
	v_fma_f32 v79, 0x3ed4b147, v59, -v83
	v_mul_f32_e32 v81, 0x3f575c64, v18
	v_fmac_f32_e32 v10, 0xbe11bafb, v51
	v_fmamk_f32 v82, v60, 0x3ed4b147, v0
	v_mul_f32_e32 v84, 0xbf0a6770, v45
	v_add_f32_e32 v11, v79, v11
	v_fmamk_f32 v79, v65, 0x3f0a6770, v81
	v_add_f32_e32 v10, v10, v4
	v_fmac_f32_e32 v78, 0xbf75a155, v55
	v_fma_f32 v1, 0xbe11bafb, v52, -v1
	v_add_f32_e32 v12, v82, v12
	v_fmamk_f32 v82, v63, 0x3f575c64, v84
	v_add_f32_e32 v11, v79, v11
	v_mul_f32_e32 v79, 0xbf27a4f4, v76
	v_add_f32_e32 v10, v78, v10
	v_fmac_f32_e32 v83, 0x3ed4b147, v59
	v_add_f32_e32 v1, v1, v5
	v_fma_f32 v78, 0xbf75a155, v57, -v80
	v_mul_f32_e32 v80, 0xbf4178ce, v77
	v_add_f32_e32 v12, v82, v12
	v_fmamk_f32 v82, v64, 0x3f4178ce, v79
	v_add_f32_e32 v83, v83, v10
	v_fmac_f32_e32 v81, 0xbf0a6770, v65
	v_add_f32_e32 v1, v78, v1
	v_fma_f32 v0, 0x3ed4b147, v60, -v0
	v_fmamk_f32 v78, v68, 0xbf27a4f4, v80
	v_add_f32_e32 v10, v82, v11
	v_add_f32_e32 v81, v81, v83
	v_fmac_f32_e32 v79, 0xbf4178ce, v64
	v_add_f32_e32 v1, v0, v1
	v_fma_f32 v82, 0x3f575c64, v63, -v84
	v_mul_f32_e32 v83, 0xbf4178ce, v13
	v_add_f32_e32 v11, v78, v12
	v_mul_f32_e32 v12, 0xbf4178ce, v14
	v_add_f32_e32 v0, v79, v81
	v_add_f32_e32 v1, v82, v1
	v_fma_f32 v78, 0xbf27a4f4, v51, -v83
	v_mul_f32_e32 v79, 0x3f7d64f0, v15
	v_fmamk_f32 v81, v52, 0xbf27a4f4, v12
	v_mul_f32_e32 v82, 0x3f7d64f0, v16
	v_mul_f32_e32 v85, 0xbf0a6770, v17
	v_add_f32_e32 v78, v78, v4
	v_fma_f32 v84, 0xbe11bafb, v55, -v79
	v_add_f32_e32 v81, v81, v5
	v_fmamk_f32 v86, v57, 0xbe11bafb, v82
	v_mul_f32_e32 v87, 0xbf0a6770, v19
	v_fma_f32 v80, 0xbf27a4f4, v68, -v80
	v_add_f32_e32 v78, v84, v78
	v_fma_f32 v84, 0x3f575c64, v59, -v85
	v_mul_f32_e32 v88, 0xbf75a155, v18
	v_add_f32_e32 v81, v86, v81
	v_fmamk_f32 v86, v60, 0x3f575c64, v87
	v_mul_f32_e32 v89, 0xbe903f40, v45
	v_add_f32_e32 v78, v84, v78
	v_fmamk_f32 v84, v65, 0x3e903f40, v88
	v_add_f32_e32 v1, v80, v1
	v_add_f32_e32 v80, v86, v81
	v_fmamk_f32 v81, v63, 0xbf75a155, v89
	v_mul_f32_e32 v86, 0x3ed4b147, v76
	v_add_f32_e32 v78, v84, v78
	v_mul_f32_e32 v84, 0x3f68dda4, v77
	v_fmac_f32_e32 v83, 0xbf27a4f4, v51
	v_add_f32_e32 v80, v81, v80
	v_fmamk_f32 v81, v64, 0xbf68dda4, v86
	v_fma_f32 v90, 0xbf27a4f4, v52, -v12
	v_fmamk_f32 v91, v68, 0x3ed4b147, v84
	v_add_f32_e32 v83, v83, v4
	v_fmac_f32_e32 v79, 0xbe11bafb, v55
	v_add_f32_e32 v12, v81, v78
	v_fma_f32 v81, 0xbe11bafb, v57, -v82
	v_mul_f32_e32 v82, 0xbe903f40, v13
	v_add_f32_e32 v78, v90, v5
	v_add_f32_e32 v13, v91, v80
	v_mul_f32_e32 v15, 0x3f0a6770, v15
	v_add_f32_e32 v79, v79, v83
	v_fma_f32 v80, 0xbf75a155, v51, -v82
	v_fmac_f32_e32 v85, 0x3f575c64, v59
	v_add_f32_e32 v78, v81, v78
	v_fma_f32 v81, 0x3f575c64, v60, -v87
	v_fma_f32 v83, 0x3f575c64, v55, -v15
	v_add_f32_e32 v80, v80, v4
	v_mul_f32_e32 v17, 0xbf4178ce, v17
	v_add_f32_e32 v79, v85, v79
	v_fmac_f32_e32 v88, 0xbe903f40, v65
	v_add_f32_e32 v78, v81, v78
	v_fma_f32 v81, 0xbf75a155, v63, -v89
	v_add_f32_e32 v80, v83, v80
	v_fma_f32 v83, 0xbf27a4f4, v59, -v17
	v_mul_f32_e32 v85, 0x3ed4b147, v18
	v_mul_f32_e32 v14, 0xbe903f40, v14
	v_add_f32_e32 v79, v88, v79
	v_add_f32_e32 v78, v81, v78
	v_fmac_f32_e32 v86, 0x3f68dda4, v64
	v_add_f32_e32 v80, v83, v80
	v_fmamk_f32 v81, v65, 0xbf68dda4, v85
	v_fma_f32 v83, 0x3ed4b147, v68, -v84
	v_fmamk_f32 v84, v52, 0xbf75a155, v14
	v_mul_f32_e32 v16, 0x3f0a6770, v16
	v_fmac_f32_e32 v82, 0xbf75a155, v51
	v_fma_f32 v14, 0xbf75a155, v52, -v14
	v_add_f32_e32 v18, v86, v79
	v_add_f32_e32 v79, v81, v80
	;; [unrolled: 1-line block ×3, first 2 shown]
	v_fmamk_f32 v81, v57, 0x3f575c64, v16
	v_mul_f32_e32 v19, 0xbf4178ce, v19
	v_add_f32_e32 v82, v82, v4
	v_fmac_f32_e32 v15, 0x3f575c64, v55
	v_add_f32_e32 v14, v14, v5
	v_fma_f32 v16, 0x3f575c64, v57, -v16
	v_add_f32_e32 v80, v81, v80
	v_fmamk_f32 v81, v60, 0xbf27a4f4, v19
	v_mul_f32_e32 v45, 0x3f68dda4, v45
	v_add_f32_e32 v15, v15, v82
	v_fmac_f32_e32 v17, 0xbf27a4f4, v59
	v_add_f32_e32 v14, v16, v14
	v_fma_f32 v16, 0xbf27a4f4, v60, -v19
	v_mul_f32_e32 v76, 0xbe11bafb, v76
	v_add_f32_e32 v80, v81, v80
	v_fmamk_f32 v19, v63, 0x3ed4b147, v45
	v_mul_f32_e32 v77, 0xbf7d64f0, v77
	v_add_f32_e32 v15, v17, v15
	v_fmac_f32_e32 v85, 0x3f68dda4, v65
	v_add_f32_e32 v14, v16, v14
	v_fma_f32 v16, 0x3ed4b147, v63, -v45
	v_fmamk_f32 v84, v64, 0x3f7d64f0, v76
	v_add_f32_e32 v17, v19, v80
	v_fmamk_f32 v45, v68, 0xbe11bafb, v77
	v_add_f32_e32 v80, v85, v15
	v_fmac_f32_e32 v76, 0xbf7d64f0, v64
	v_add_f32_e32 v81, v16, v14
	v_fma_f32 v77, 0xbe11bafb, v68, -v77
	v_add_f32_e32 v19, v83, v78
	v_add_f32_e32 v14, v84, v79
	;; [unrolled: 1-line block ×5, first 2 shown]
	v_mul_lo_u16 v45, v43, 11
	s_barrier
	buffer_gl0_inv
	s_and_saveexec_b32 s2, vcc_lo
	s_cbranch_execz .LBB0_7
; %bb.6:
	v_add_f32_e32 v7, v7, v5
	v_add_f32_e32 v6, v6, v4
	v_mul_f32_e32 v77, 0x3f575c64, v52
	v_mul_f32_e32 v52, 0x3ed4b147, v52
	;; [unrolled: 1-line block ×3, first 2 shown]
	v_add_f32_e32 v7, v33, v7
	v_add_f32_e32 v32, v32, v6
	v_mul_f32_e32 v51, 0x3ed4b147, v51
	v_mul_f32_e32 v79, 0x3ed4b147, v57
	;; [unrolled: 1-line block ×3, first 2 shown]
	v_add_f32_e32 v7, v35, v7
	v_add_f32_e32 v32, v34, v32
	;; [unrolled: 1-line block ×3, first 2 shown]
	v_mul_f32_e32 v78, 0x3ed4b147, v55
	v_sub_f32_e32 v51, v51, v54
	v_add_f32_e32 v7, v21, v7
	v_add_f32_e32 v20, v20, v32
	;; [unrolled: 1-line block ×3, first 2 shown]
	v_sub_f32_e32 v35, v76, v46
	v_mul_f32_e32 v55, 0xbf27a4f4, v55
	v_add_f32_e32 v7, v23, v7
	v_add_f32_e32 v20, v22, v20
	v_mul_f32_e32 v80, 0xbe11bafb, v60
	v_mul_f32_e32 v60, 0xbf75a155, v60
	v_add_f32_e32 v52, v52, v5
	v_add_f32_e32 v57, v73, v57
	v_mul_f32_e32 v72, 0xbe11bafb, v59
	v_add_f32_e32 v51, v51, v4
	v_add_f32_e32 v5, v47, v5
	;; [unrolled: 1-line block ×4, first 2 shown]
	v_sub_f32_e32 v32, v78, v48
	v_add_f32_e32 v7, v29, v7
	v_add_f32_e32 v20, v28, v20
	v_mul_f32_e32 v59, 0xbf75a155, v59
	v_add_f32_e32 v52, v57, v52
	v_add_f32_e32 v54, v71, v60
	v_mul_f32_e32 v57, 0xbe11bafb, v63
	v_sub_f32_e32 v55, v55, v69
	v_mul_f32_e32 v73, 0xbf4178ce, v65
	v_mul_f32_e32 v81, 0xbf27a4f4, v63
	v_add_f32_e32 v5, v21, v5
	v_add_f32_e32 v21, v53, v80
	v_add_f32_e32 v4, v32, v4
	v_sub_f32_e32 v22, v72, v50
	v_add_f32_e32 v7, v31, v7
	v_add_f32_e32 v20, v30, v20
	v_mul_f32_e32 v65, 0x3f7d64f0, v65
	v_add_f32_e32 v52, v54, v52
	v_add_f32_e32 v54, v57, v74
	v_mul_f32_e32 v57, 0x3f575c64, v68
	v_add_f32_e32 v51, v55, v51
	v_sub_f32_e32 v55, v59, v70
	v_mul_f32_e32 v60, 0xbe903f40, v64
	v_mul_f32_e32 v63, 0xbf75a155, v68
	v_add_f32_e32 v5, v21, v5
	v_add_f32_e32 v21, v81, v58
	;; [unrolled: 1-line block ×3, first 2 shown]
	v_sub_f32_e32 v22, v56, v73
	v_add_f32_e32 v7, v25, v7
	v_add_f32_e32 v20, v24, v20
	;; [unrolled: 1-line block ×5, first 2 shown]
	v_sub_f32_e32 v55, v66, v65
	v_mul_f32_e32 v57, 0x3f0a6770, v64
	v_add_f32_e32 v5, v21, v5
	v_add_f32_e32 v21, v63, v62
	;; [unrolled: 1-line block ×3, first 2 shown]
	v_sub_f32_e32 v22, v61, v60
	v_add_f32_e32 v7, v27, v7
	v_add_f32_e32 v23, v26, v20
	v_and_b32_e32 v24, 0xffff, v45
	v_add_f32_e32 v33, v55, v51
	v_sub_f32_e32 v34, v67, v57
	v_add_f32_e32 v21, v21, v5
	v_add_f32_e32 v20, v22, v4
	;; [unrolled: 1-line block ×4, first 2 shown]
	v_add_lshl_u32 v4, v41, v24, 3
	v_add_f32_e32 v6, v54, v52
	v_add_f32_e32 v5, v34, v33
	ds_write2_b64 v4, v[8:9], v[20:21] offset1:1
	ds_write2_b64 v4, v[5:6], v[10:11] offset0:2 offset1:3
	ds_write2_b64 v4, v[12:13], v[14:15] offset0:4 offset1:5
	;; [unrolled: 1-line block ×4, first 2 shown]
	ds_write_b64 v4, v[37:38] offset:80
.LBB0_7:
	s_or_b32 exec_lo, exec_lo, s2
	v_lshlrev_b32_e32 v4, 4, v43
	s_load_dwordx4 s[0:3], s[0:1], 0x0
	s_waitcnt lgkmcnt(0)
	s_barrier
	buffer_gl0_inv
	global_load_dwordx4 v[4:7], v4, s[4:5]
	v_add_lshl_u32 v27, v41, v43, 3
	ds_read2_b64 v[20:23], v27 offset1:11
	ds_read_b64 v[8:9], v27 offset:176
	v_lshl_add_u32 v26, v43, 3, v44
	s_waitcnt vmcnt(0) lgkmcnt(1)
	v_mul_f32_e32 v24, v23, v5
	s_waitcnt lgkmcnt(0)
	v_mul_f32_e32 v25, v9, v7
	v_mul_f32_e32 v28, v22, v5
	;; [unrolled: 1-line block ×3, first 2 shown]
	v_fma_f32 v22, v22, v4, -v24
	v_fma_f32 v24, v8, v6, -v25
	v_fmac_f32_e32 v28, v23, v4
	v_fmac_f32_e32 v29, v9, v6
	v_add_f32_e32 v23, v20, v22
	v_add_f32_e32 v8, v22, v24
	v_sub_f32_e32 v30, v22, v24
	v_add_f32_e32 v9, v28, v29
	v_sub_f32_e32 v25, v28, v29
	v_add_f32_e32 v28, v21, v28
	v_fma_f32 v8, -0.5, v8, v20
	v_add_f32_e32 v20, v23, v24
	v_fma_f32 v9, -0.5, v9, v21
	v_add_f32_e32 v21, v28, v29
	v_fmamk_f32 v22, v25, 0x3f5db3d7, v8
	v_fmac_f32_e32 v8, 0xbf5db3d7, v25
	v_fmamk_f32 v23, v30, 0xbf5db3d7, v9
	v_fmac_f32_e32 v9, 0x3f5db3d7, v30
	ds_write2_b64 v26, v[20:21], v[22:23] offset1:11
	ds_write_b64 v26, v[8:9] offset:176
	s_waitcnt lgkmcnt(0)
	s_barrier
	buffer_gl0_inv
	s_and_saveexec_b32 s8, vcc_lo
	s_cbranch_execz .LBB0_9
; %bb.8:
	s_add_u32 s4, s12, 0x108
	s_addc_u32 s5, s13, 0
	s_clause 0xa
	global_load_dwordx2 v[24:25], v42, s[12:13] offset:264
	global_load_dwordx2 v[58:59], v42, s[4:5] offset:24
	;; [unrolled: 1-line block ×11, first 2 shown]
	ds_read2_b64 v[28:31], v26 offset1:3
	ds_read2_b64 v[32:35], v26 offset0:6 offset1:9
	ds_read2_b64 v[46:49], v26 offset0:12 offset1:15
	;; [unrolled: 1-line block ×4, first 2 shown]
	ds_read_b64 v[78:79], v26 offset:240
	s_waitcnt vmcnt(10) lgkmcnt(5)
	v_mul_f32_e32 v80, v29, v25
	v_mul_f32_e32 v81, v28, v25
	s_waitcnt vmcnt(9)
	v_mul_f32_e32 v82, v31, v59
	v_mul_f32_e32 v25, v30, v59
	s_waitcnt vmcnt(8) lgkmcnt(4)
	v_mul_f32_e32 v83, v33, v61
	v_mul_f32_e32 v59, v32, v61
	s_waitcnt vmcnt(7)
	v_mul_f32_e32 v84, v35, v63
	v_mul_f32_e32 v61, v34, v63
	;; [unrolled: 6-line block ×5, first 2 shown]
	s_waitcnt vmcnt(0) lgkmcnt(0)
	v_mul_f32_e32 v91, v79, v77
	v_mul_f32_e32 v75, v78, v77
	v_fma_f32 v80, v28, v24, -v80
	v_fmac_f32_e32 v81, v29, v24
	v_fma_f32 v24, v30, v58, -v82
	v_fmac_f32_e32 v25, v31, v58
	;; [unrolled: 2-line block ×11, first 2 shown]
	ds_write2_b64 v26, v[80:81], v[24:25] offset1:3
	ds_write2_b64 v26, v[58:59], v[60:61] offset0:6 offset1:9
	ds_write2_b64 v26, v[62:63], v[64:65] offset0:12 offset1:15
	;; [unrolled: 1-line block ×4, first 2 shown]
	ds_write_b64 v26, v[74:75] offset:240
.LBB0_9:
	s_or_b32 exec_lo, exec_lo, s8
	s_waitcnt lgkmcnt(0)
	s_barrier
	buffer_gl0_inv
	s_and_saveexec_b32 s4, vcc_lo
	s_cbranch_execz .LBB0_11
; %bb.10:
	ds_read2_b64 v[20:23], v26 offset1:3
	ds_read2_b64 v[8:11], v26 offset0:6 offset1:9
	ds_read2_b64 v[12:15], v26 offset0:12 offset1:15
	;; [unrolled: 1-line block ×4, first 2 shown]
	ds_read_b64 v[37:38], v26 offset:240
.LBB0_11:
	s_or_b32 exec_lo, exec_lo, s4
	s_waitcnt lgkmcnt(0)
	s_barrier
	buffer_gl0_inv
	s_and_saveexec_b32 s4, vcc_lo
	s_cbranch_execz .LBB0_13
; %bb.12:
	v_add_f32_e32 v49, v38, v23
	v_sub_f32_e32 v31, v22, v37
	v_add_f32_e32 v50, v3, v9
	v_sub_f32_e32 v29, v8, v2
	v_sub_f32_e32 v55, v23, v38
	v_mul_f32_e32 v52, 0xbf75a155, v49
	v_add_f32_e32 v51, v1, v11
	v_mul_f32_e32 v54, 0x3f575c64, v50
	v_add_f32_e32 v32, v37, v22
	v_sub_f32_e32 v57, v9, v3
	v_fmamk_f32 v24, v31, 0x3e903f40, v52
	v_mul_f32_e32 v59, 0xbe903f40, v55
	v_fmamk_f32 v25, v29, 0xbf0a6770, v54
	v_sub_f32_e32 v30, v10, v0
	v_sub_f32_e32 v53, v12, v18
	v_add_f32_e32 v24, v21, v24
	v_mul_f32_e32 v56, 0xbf27a4f4, v51
	v_add_f32_e32 v34, v2, v8
	v_mul_f32_e32 v60, 0x3f0a6770, v57
	v_sub_f32_e32 v61, v11, v1
	v_add_f32_e32 v24, v25, v24
	v_fmamk_f32 v25, v32, 0xbf75a155, v59
	v_add_f32_e32 v28, v13, v19
	v_mul_f32_e32 v58, 0x3f68dda4, v53
	v_fmamk_f32 v33, v30, 0x3f4178ce, v56
	v_sub_f32_e32 v62, v14, v16
	v_add_f32_e32 v25, v20, v25
	v_fmamk_f32 v46, v34, 0x3f575c64, v60
	v_add_f32_e32 v35, v0, v10
	v_mul_f32_e32 v63, 0xbf4178ce, v61
	v_sub_f32_e32 v64, v13, v19
	v_fma_f32 v47, 0x3ed4b147, v28, -v58
	v_add_f32_e32 v24, v33, v24
	v_add_f32_e32 v33, v15, v17
	v_mul_f32_e32 v65, 0xbf7d64f0, v62
	v_add_f32_e32 v25, v46, v25
	v_fmamk_f32 v48, v35, 0xbf27a4f4, v63
	v_add_f32_e32 v46, v12, v18
	v_mul_f32_e32 v66, 0x3f68dda4, v64
	v_add_f32_e32 v24, v47, v24
	v_mul_f32_e32 v67, 0xbf27a4f4, v49
	v_fma_f32 v47, 0xbe11bafb, v33, -v65
	v_add_f32_e32 v48, v48, v25
	v_fmamk_f32 v68, v46, 0x3ed4b147, v66
	v_mul_f32_e32 v70, 0xbe11bafb, v50
	v_fmamk_f32 v69, v31, 0x3f4178ce, v67
	v_add_f32_e32 v25, v47, v24
	v_add_f32_e32 v71, v14, v16
	;; [unrolled: 1-line block ×3, first 2 shown]
	v_sub_f32_e32 v68, v15, v17
	v_add_f32_e32 v47, v21, v69
	v_fmamk_f32 v48, v29, 0xbf7d64f0, v70
	v_mul_f32_e32 v69, 0x3f575c64, v51
	v_mul_f32_e32 v73, 0xbf4178ce, v55
	;; [unrolled: 1-line block ×4, first 2 shown]
	v_add_f32_e32 v47, v48, v47
	v_fmamk_f32 v48, v30, 0x3f0a6770, v69
	v_fmamk_f32 v76, v32, 0xbf27a4f4, v73
	;; [unrolled: 1-line block ×3, first 2 shown]
	v_mul_f32_e32 v77, 0x3f7d64f0, v57
	v_mul_f32_e32 v78, 0xbf0a6770, v61
	v_add_f32_e32 v47, v48, v47
	v_fma_f32 v48, 0xbf75a155, v28, -v74
	v_add_f32_e32 v24, v75, v24
	v_add_f32_e32 v75, v20, v76
	v_fmamk_f32 v76, v34, 0xbe11bafb, v77
	v_mul_f32_e32 v79, 0x3f68dda4, v62
	v_add_f32_e32 v47, v48, v47
	v_mul_f32_e32 v80, 0xbe11bafb, v49
	v_mul_f32_e32 v83, 0xbf75a155, v50
	v_add_f32_e32 v48, v76, v75
	v_fmamk_f32 v75, v35, 0x3f575c64, v78
	v_mul_f32_e32 v76, 0xbe903f40, v64
	v_fma_f32 v81, 0x3ed4b147, v33, -v79
	v_fmamk_f32 v82, v31, 0x3f7d64f0, v80
	v_mul_f32_e32 v85, 0xbf7d64f0, v55
	v_add_f32_e32 v75, v75, v48
	v_fmamk_f32 v84, v46, 0xbf75a155, v76
	v_add_f32_e32 v48, v81, v47
	v_add_f32_e32 v47, v21, v82
	v_fmamk_f32 v81, v29, 0xbe903f40, v83
	v_mul_f32_e32 v82, 0x3ed4b147, v51
	v_add_f32_e32 v75, v84, v75
	v_mul_f32_e32 v84, 0x3f68dda4, v68
	v_fmamk_f32 v88, v32, 0xbe11bafb, v85
	v_add_f32_e32 v47, v81, v47
	v_fmamk_f32 v81, v30, 0xbf68dda4, v82
	v_mul_f32_e32 v89, 0x3e903f40, v57
	v_fmamk_f32 v87, v71, 0x3ed4b147, v84
	v_add_f32_e32 v23, v23, v21
	v_mul_f32_e32 v86, 0xbf0a6770, v53
	v_add_f32_e32 v81, v81, v47
	v_add_f32_e32 v22, v22, v20
	;; [unrolled: 1-line block ×4, first 2 shown]
	v_fmamk_f32 v87, v34, 0xbf75a155, v89
	v_mul_f32_e32 v88, 0x3f68dda4, v61
	v_add_f32_e32 v9, v9, v23
	v_fma_f32 v90, 0x3f575c64, v28, -v86
	v_mul_f32_e32 v91, 0x3ed4b147, v49
	v_add_f32_e32 v75, v87, v75
	v_fmamk_f32 v87, v35, 0x3ed4b147, v88
	v_add_f32_e32 v8, v8, v22
	v_add_f32_e32 v9, v11, v9
	;; [unrolled: 1-line block ×3, first 2 shown]
	v_mul_f32_e32 v90, 0xbf4178ce, v62
	v_mul_f32_e32 v92, 0xbf0a6770, v64
	v_fmamk_f32 v22, v31, 0x3f68dda4, v91
	v_add_f32_e32 v23, v87, v75
	v_mul_f32_e32 v75, 0xbf27a4f4, v50
	v_add_f32_e32 v8, v10, v8
	v_add_f32_e32 v9, v13, v9
	v_fma_f32 v93, 0xbf27a4f4, v33, -v90
	v_fmamk_f32 v10, v46, 0x3f575c64, v92
	v_mul_f32_e32 v87, 0xbf4178ce, v68
	v_add_f32_e32 v11, v21, v22
	v_fmamk_f32 v22, v29, 0x3f4178ce, v75
	v_add_f32_e32 v8, v12, v8
	v_mul_f32_e32 v94, 0xbf75a155, v51
	v_add_f32_e32 v12, v15, v9
	v_add_f32_e32 v10, v10, v23
	v_mul_f32_e32 v23, 0xbf68dda4, v55
	v_add_f32_e32 v13, v14, v8
	v_fmamk_f32 v8, v71, 0xbf27a4f4, v87
	v_add_f32_e32 v11, v22, v11
	v_fmamk_f32 v15, v30, 0xbe903f40, v94
	v_add_f32_e32 v9, v93, v81
	v_mul_f32_e32 v93, 0x3f7d64f0, v53
	v_add_f32_e32 v12, v17, v12
	v_mul_f32_e32 v49, 0x3f575c64, v49
	v_fmamk_f32 v14, v32, 0x3ed4b147, v23
	v_mul_f32_e32 v95, 0xbf4178ce, v57
	v_add_f32_e32 v8, v8, v10
	v_add_f32_e32 v10, v15, v11
	;; [unrolled: 1-line block ×4, first 2 shown]
	v_fma_f32 v15, 0xbe11bafb, v28, -v93
	v_fmamk_f32 v16, v31, 0x3f0a6770, v49
	v_mul_f32_e32 v19, 0x3ed4b147, v50
	v_add_f32_e32 v14, v20, v14
	v_fmamk_f32 v22, v34, 0xbf27a4f4, v95
	v_mul_f32_e32 v81, 0x3e903f40, v61
	v_add_f32_e32 v10, v15, v10
	v_add_f32_e32 v15, v21, v16
	v_fmamk_f32 v16, v29, 0x3f68dda4, v19
	v_mul_f32_e32 v55, 0xbf0a6770, v55
	v_add_f32_e32 v11, v22, v14
	v_fmamk_f32 v14, v35, 0xbf75a155, v81
	v_mul_f32_e32 v22, 0x3f7d64f0, v64
	v_mul_f32_e32 v51, 0xbe11bafb, v51
	v_add_f32_e32 v15, v16, v15
	v_fmamk_f32 v16, v32, 0x3f575c64, v55
	v_mul_f32_e32 v57, 0xbf68dda4, v57
	v_add_f32_e32 v13, v18, v13
	v_mul_f32_e32 v18, 0x3f0a6770, v62
	v_add_f32_e32 v11, v14, v11
	v_fmamk_f32 v14, v46, 0xbe11bafb, v22
	v_mul_f32_e32 v50, 0x3f0a6770, v68
	v_fmamk_f32 v96, v30, 0x3f7d64f0, v51
	v_mul_f32_e32 v53, 0xbf4178ce, v53
	v_add_f32_e32 v16, v20, v16
	v_fmamk_f32 v97, v34, 0x3ed4b147, v57
	v_mul_f32_e32 v61, 0xbf7d64f0, v61
	v_add_f32_e32 v14, v14, v11
	v_fma_f32 v11, 0x3f575c64, v33, -v18
	v_fmamk_f32 v17, v71, 0x3f575c64, v50
	v_add_f32_e32 v15, v96, v15
	v_fma_f32 v96, 0xbf27a4f4, v28, -v53
	v_add_f32_e32 v16, v97, v16
	v_fmamk_f32 v97, v35, 0xbe11bafb, v61
	v_mul_f32_e32 v64, 0xbf4178ce, v64
	v_fmac_f32_e32 v52, 0xbe903f40, v31
	v_add_f32_e32 v11, v11, v10
	v_add_f32_e32 v10, v17, v14
	;; [unrolled: 1-line block ×4, first 2 shown]
	v_fmamk_f32 v16, v46, 0xbf27a4f4, v64
	v_add_f32_e32 v17, v21, v52
	v_fmac_f32_e32 v54, 0x3f0a6770, v29
	v_add_f32_e32 v12, v1, v12
	v_mul_f32_e32 v62, 0xbe903f40, v62
	v_add_f32_e32 v15, v16, v15
	v_fmac_f32_e32 v56, 0xbf4178ce, v30
	v_add_f32_e32 v16, v54, v17
	v_add_f32_e32 v3, v3, v12
	;; [unrolled: 1-line block ×3, first 2 shown]
	v_mul_f32_e32 v52, 0xbe903f40, v68
	v_fma_f32 v68, 0xbf75a155, v33, -v62
	v_fma_f32 v13, 0xbf75a155, v32, -v59
	v_fmac_f32_e32 v58, 0x3ed4b147, v28
	v_add_f32_e32 v2, v2, v12
	v_add_f32_e32 v12, v56, v16
	v_fmamk_f32 v17, v71, 0xbf75a155, v52
	v_add_f32_e32 v1, v68, v14
	v_add_f32_e32 v13, v20, v13
	v_fma_f32 v14, 0x3f575c64, v34, -v60
	v_fmac_f32_e32 v67, 0xbf4178ce, v31
	v_add_f32_e32 v12, v58, v12
	v_fmac_f32_e32 v65, 0xbe11bafb, v33
	v_add_f32_e32 v0, v17, v15
	v_add_f32_e32 v14, v14, v13
	v_fma_f32 v15, 0xbf27a4f4, v35, -v63
	v_add_f32_e32 v16, v21, v67
	v_fmac_f32_e32 v70, 0x3f7d64f0, v29
	v_add_f32_e32 v13, v65, v12
	v_fma_f32 v12, 0xbf27a4f4, v32, -v73
	v_add_f32_e32 v14, v15, v14
	v_fma_f32 v15, 0x3ed4b147, v46, -v66
	v_add_f32_e32 v16, v70, v16
	v_fmac_f32_e32 v69, 0xbf0a6770, v30
	v_add_f32_e32 v12, v20, v12
	v_fma_f32 v17, 0xbe11bafb, v34, -v77
	v_add_f32_e32 v2, v37, v2
	v_add_f32_e32 v14, v15, v14
	v_fma_f32 v15, 0xbe11bafb, v71, -v72
	v_add_f32_e32 v16, v69, v16
	v_fmac_f32_e32 v74, 0xbf75a155, v28
	v_add_f32_e32 v17, v17, v12
	v_fma_f32 v37, 0x3f575c64, v35, -v78
	v_fmac_f32_e32 v80, 0xbf7d64f0, v31
	v_add_f32_e32 v12, v15, v14
	v_add_f32_e32 v14, v74, v16
	v_fmac_f32_e32 v79, 0x3ed4b147, v33
	v_add_f32_e32 v16, v37, v17
	v_fma_f32 v17, 0xbf75a155, v46, -v76
	v_add_f32_e32 v37, v21, v80
	v_fmac_f32_e32 v83, 0x3e903f40, v29
	v_add_f32_e32 v15, v79, v14
	v_fma_f32 v14, 0xbe11bafb, v32, -v85
	v_add_f32_e32 v16, v17, v16
	v_fma_f32 v17, 0x3ed4b147, v71, -v84
	v_add_f32_e32 v37, v83, v37
	v_fmac_f32_e32 v82, 0x3f68dda4, v30
	v_add_f32_e32 v3, v38, v3
	v_add_f32_e32 v38, v20, v14
	v_fma_f32 v54, 0xbf75a155, v34, -v89
	v_add_f32_e32 v14, v17, v16
	v_add_f32_e32 v16, v82, v37
	v_fmac_f32_e32 v86, 0x3f575c64, v28
	v_fma_f32 v37, 0x3ed4b147, v35, -v88
	v_add_f32_e32 v17, v54, v38
	v_fmac_f32_e32 v90, 0xbf27a4f4, v33
	v_fmac_f32_e32 v91, 0xbf68dda4, v31
	v_add_f32_e32 v16, v86, v16
	v_fma_f32 v54, 0x3f575c64, v46, -v92
	v_add_f32_e32 v37, v37, v17
	v_fmac_f32_e32 v49, 0xbf0a6770, v31
	v_fma_f32 v31, 0x3f575c64, v32, -v55
	v_add_f32_e32 v17, v90, v16
	v_fma_f32 v16, 0x3ed4b147, v32, -v23
	v_add_f32_e32 v38, v21, v91
	v_fmac_f32_e32 v75, 0xbf4178ce, v29
	v_add_f32_e32 v23, v54, v37
	v_fma_f32 v37, 0xbf27a4f4, v71, -v87
	v_add_f32_e32 v54, v20, v16
	v_fma_f32 v56, 0xbf27a4f4, v34, -v95
	v_add_f32_e32 v21, v21, v49
	v_fmac_f32_e32 v19, 0xbf68dda4, v29
	v_add_f32_e32 v20, v20, v31
	v_fma_f32 v29, 0x3ed4b147, v34, -v57
	v_add_f32_e32 v38, v75, v38
	v_fmac_f32_e32 v94, 0x3e903f40, v30
	v_add_f32_e32 v16, v37, v23
	v_add_f32_e32 v32, v56, v54
	v_fma_f32 v37, 0xbf75a155, v35, -v81
	v_add_f32_e32 v19, v19, v21
	v_fmac_f32_e32 v51, 0xbf7d64f0, v30
	v_add_f32_e32 v20, v29, v20
	v_fma_f32 v21, 0xbe11bafb, v35, -v61
	v_add_f32_e32 v38, v94, v38
	v_fmac_f32_e32 v93, 0xbe11bafb, v28
	;; [unrolled: 4-line block ×3, first 2 shown]
	v_add_f32_e32 v20, v21, v20
	v_fma_f32 v21, 0xbf27a4f4, v46, -v64
	v_and_b32_e32 v29, 0xffff, v45
	v_add_f32_e32 v23, v93, v38
	v_fmac_f32_e32 v18, 0x3f575c64, v33
	v_add_f32_e32 v22, v22, v31
	v_fma_f32 v28, 0x3f575c64, v71, -v50
	v_add_f32_e32 v30, v53, v19
	v_fmac_f32_e32 v62, 0xbf75a155, v33
	v_add_f32_e32 v20, v21, v20
	v_fma_f32 v31, 0xbf75a155, v71, -v52
	v_lshl_add_u32 v29, v29, 3, v44
	v_add_f32_e32 v19, v18, v23
	v_add_f32_e32 v18, v28, v22
	;; [unrolled: 1-line block ×4, first 2 shown]
	ds_write2_b64 v29, v[2:3], v[0:1] offset1:1
	ds_write2_b64 v29, v[10:11], v[8:9] offset0:2 offset1:3
	ds_write2_b64 v29, v[47:48], v[24:25] offset0:4 offset1:5
	;; [unrolled: 1-line block ×4, first 2 shown]
	ds_write_b64 v29, v[20:21] offset:80
.LBB0_13:
	s_or_b32 exec_lo, exec_lo, s4
	s_waitcnt lgkmcnt(0)
	s_barrier
	buffer_gl0_inv
	ds_read2_b64 v[0:3], v27 offset1:11
	ds_read_b64 v[8:9], v27 offset:176
	s_waitcnt lgkmcnt(1)
	v_mul_f32_e32 v10, v5, v3
	s_waitcnt lgkmcnt(0)
	v_mul_f32_e32 v11, v7, v9
	v_mul_f32_e32 v5, v5, v2
	;; [unrolled: 1-line block ×3, first 2 shown]
	v_fmac_f32_e32 v10, v4, v2
	v_fmac_f32_e32 v11, v6, v8
	v_fma_f32 v2, v4, v3, -v5
	v_fma_f32 v3, v6, v9, -v7
	v_add_f32_e32 v5, v0, v10
	v_add_f32_e32 v4, v10, v11
	;; [unrolled: 1-line block ×4, first 2 shown]
	v_sub_f32_e32 v7, v2, v3
	v_sub_f32_e32 v9, v10, v11
	v_fma_f32 v0, -0.5, v4, v0
	v_add_f32_e32 v2, v5, v11
	v_fma_f32 v1, -0.5, v6, v1
	v_add_f32_e32 v3, v8, v3
	v_fmamk_f32 v4, v7, 0xbf5db3d7, v0
	v_fmac_f32_e32 v0, 0x3f5db3d7, v7
	v_fmamk_f32 v5, v9, 0x3f5db3d7, v1
	v_fmac_f32_e32 v1, 0xbf5db3d7, v9
	ds_write2_b64 v26, v[2:3], v[4:5] offset1:11
	ds_write_b64 v26, v[0:1] offset:176
	s_waitcnt lgkmcnt(0)
	s_barrier
	buffer_gl0_inv
	s_and_b32 exec_lo, exec_lo, vcc_lo
	s_cbranch_execz .LBB0_15
; %bb.14:
	s_clause 0xa
	global_load_dwordx2 v[20:21], v42, s[12:13]
	global_load_dwordx2 v[22:23], v42, s[12:13] offset:24
	global_load_dwordx2 v[24:25], v42, s[12:13] offset:48
	;; [unrolled: 1-line block ×10, first 2 shown]
	v_mad_u64_u32 v[0:1], null, s2, v36, 0
	v_mad_u64_u32 v[2:3], null, s0, v43, 0
	;; [unrolled: 1-line block ×4, first 2 shown]
	v_lshl_add_u32 v19, v41, 3, v42
	s_mul_i32 s4, s1, 24
	v_mad_u64_u32 v[4:5], null, s3, v36, v[1:2]
	ds_read_b64 v[35:36], v26
	s_mul_hi_u32 s5, s0, 24
	v_mov_b32_e32 v12, v57
	s_mul_i32 s8, s0, 24
	s_add_i32 s5, s5, s4
	s_mov_b32 s2, 0xf07c1f08
	v_mad_u64_u32 v[5:6], null, s1, v43, v[3:4]
	v_mov_b32_e32 v1, v4
	s_mov_b32 s3, 0x3f9f07c1
	s_mul_i32 s4, s1, 48
	v_lshlrev_b64 v[0:1], 3, v[0:1]
	v_mov_b32_e32 v3, v5
	v_add_co_u32 v66, vcc_lo, s6, v0
	v_lshlrev_b64 v[2:3], 3, v[2:3]
	v_mov_b32_e32 v0, v51
	v_add_co_ci_u32_e32 v67, vcc_lo, s7, v1, vcc_lo
	v_mad_u64_u32 v[16:17], null, s1, v40, v[0:1]
	v_add_co_u32 v52, vcc_lo, v66, v2
	v_mad_u64_u32 v[17:18], null, s1, v39, v[12:13]
	v_add_co_ci_u32_e32 v53, vcc_lo, v67, v3, vcc_lo
	ds_read2_b64 v[0:3], v19 offset0:3 offset1:6
	ds_read2_b64 v[4:7], v19 offset0:9 offset1:12
	;; [unrolled: 1-line block ×4, first 2 shown]
	v_mov_b32_e32 v51, v16
	v_add_co_u32 v54, vcc_lo, v52, s8
	v_mov_b32_e32 v57, v17
	ds_read2_b64 v[16:19], v19 offset0:27 offset1:30
	v_add_co_ci_u32_e32 v55, vcc_lo, s5, v53, vcc_lo
	v_add_co_u32 v58, vcc_lo, v54, s8
	v_lshlrev_b64 v[50:51], 3, v[50:51]
	v_add_co_ci_u32_e32 v59, vcc_lo, s5, v55, vcc_lo
	v_add_co_u32 v41, vcc_lo, v58, s8
	v_lshlrev_b64 v[56:57], 3, v[56:57]
	v_add_co_ci_u32_e32 v42, vcc_lo, s5, v59, vcc_lo
	v_mad_u64_u32 v[60:61], null, s0, 48, v[41:42]
	v_add_nc_u32_e32 v61, s4, v61
	v_add_co_u32 v39, vcc_lo, v60, s8
	v_add_co_ci_u32_e32 v40, vcc_lo, s5, v61, vcc_lo
	v_add_co_u32 v62, vcc_lo, v39, s8
	v_add_co_ci_u32_e32 v63, vcc_lo, s5, v40, vcc_lo
	v_mad_u64_u32 v[64:65], null, s0, 48, v[62:63]
	v_add_nc_u32_e32 v65, s4, v65
	s_waitcnt vmcnt(10) lgkmcnt(5)
	v_mul_f32_e32 v26, v36, v21
	v_mul_f32_e32 v21, v35, v21
	s_waitcnt vmcnt(9) lgkmcnt(4)
	v_mul_f32_e32 v43, v1, v23
	v_mul_f32_e32 v23, v0, v23
	s_waitcnt vmcnt(8)
	v_mul_f32_e32 v68, v3, v25
	v_mul_f32_e32 v25, v2, v25
	s_waitcnt vmcnt(7) lgkmcnt(3)
	v_mul_f32_e32 v69, v5, v28
	v_mul_f32_e32 v28, v4, v28
	s_waitcnt vmcnt(6)
	v_mul_f32_e32 v70, v7, v30
	v_mul_f32_e32 v30, v6, v30
	s_waitcnt vmcnt(5) lgkmcnt(2)
	v_mul_f32_e32 v71, v9, v32
	v_mul_f32_e32 v32, v8, v32
	v_fmac_f32_e32 v26, v35, v20
	v_fma_f32 v20, v20, v36, -v21
	s_waitcnt vmcnt(4)
	v_mul_f32_e32 v72, v11, v34
	v_mul_f32_e32 v34, v10, v34
	v_fmac_f32_e32 v43, v0, v22
	v_fma_f32 v21, v22, v1, -v23
	s_waitcnt vmcnt(3) lgkmcnt(1)
	v_mul_f32_e32 v73, v13, v38
	v_mul_f32_e32 v38, v12, v38
	v_fmac_f32_e32 v68, v2, v24
	v_fma_f32 v22, v24, v3, -v25
	s_waitcnt vmcnt(2)
	v_mul_f32_e32 v74, v15, v45
	v_mul_f32_e32 v45, v14, v45
	v_fmac_f32_e32 v69, v4, v27
	v_fma_f32 v23, v27, v5, -v28
	s_waitcnt vmcnt(1) lgkmcnt(0)
	v_mul_f32_e32 v75, v17, v47
	v_mul_f32_e32 v47, v16, v47
	s_waitcnt vmcnt(0)
	v_mul_f32_e32 v76, v19, v49
	v_mul_f32_e32 v49, v18, v49
	v_fmac_f32_e32 v70, v6, v29
	v_fma_f32 v24, v29, v7, -v30
	v_fmac_f32_e32 v71, v8, v31
	v_fma_f32 v25, v31, v9, -v32
	v_cvt_f64_f32_e32 v[0:1], v26
	v_cvt_f64_f32_e32 v[2:3], v20
	v_fmac_f32_e32 v72, v10, v33
	v_fma_f32 v27, v33, v11, -v34
	v_cvt_f64_f32_e32 v[4:5], v43
	v_cvt_f64_f32_e32 v[6:7], v21
	;; [unrolled: 4-line block ×4, first 2 shown]
	v_fmac_f32_e32 v75, v16, v46
	v_fma_f32 v38, v46, v17, -v47
	v_fmac_f32_e32 v76, v18, v48
	v_fma_f32 v47, v48, v19, -v49
	v_cvt_f64_f32_e32 v[16:17], v70
	v_cvt_f64_f32_e32 v[18:19], v24
	;; [unrolled: 1-line block ×14, first 2 shown]
	v_mul_f64 v[0:1], v[0:1], s[2:3]
	v_mul_f64 v[2:3], v[2:3], s[2:3]
	;; [unrolled: 1-line block ×22, first 2 shown]
	v_cvt_f32_f64_e32 v0, v[0:1]
	v_cvt_f32_f64_e32 v1, v[2:3]
	;; [unrolled: 1-line block ×22, first 2 shown]
	v_add_co_u32 v22, vcc_lo, v66, v50
	v_add_co_ci_u32_e32 v23, vcc_lo, v67, v51, vcc_lo
	v_add_co_u32 v24, vcc_lo, v66, v56
	v_add_co_ci_u32_e32 v25, vcc_lo, v67, v57, vcc_lo
	;; [unrolled: 2-line block ×3, first 2 shown]
	global_store_dwordx2 v[52:53], v[0:1], off
	global_store_dwordx2 v[54:55], v[2:3], off
	;; [unrolled: 1-line block ×11, first 2 shown]
.LBB0_15:
	s_endpgm
	.section	.rodata,"a",@progbits
	.p2align	6, 0x0
	.amdhsa_kernel bluestein_single_back_len33_dim1_sp_op_CI_CI
		.amdhsa_group_segment_fixed_size 6072
		.amdhsa_private_segment_fixed_size 0
		.amdhsa_kernarg_size 104
		.amdhsa_user_sgpr_count 6
		.amdhsa_user_sgpr_private_segment_buffer 1
		.amdhsa_user_sgpr_dispatch_ptr 0
		.amdhsa_user_sgpr_queue_ptr 0
		.amdhsa_user_sgpr_kernarg_segment_ptr 1
		.amdhsa_user_sgpr_dispatch_id 0
		.amdhsa_user_sgpr_flat_scratch_init 0
		.amdhsa_user_sgpr_private_segment_size 0
		.amdhsa_wavefront_size32 1
		.amdhsa_uses_dynamic_stack 0
		.amdhsa_system_sgpr_private_segment_wavefront_offset 0
		.amdhsa_system_sgpr_workgroup_id_x 1
		.amdhsa_system_sgpr_workgroup_id_y 0
		.amdhsa_system_sgpr_workgroup_id_z 0
		.amdhsa_system_sgpr_workgroup_info 0
		.amdhsa_system_vgpr_workitem_id 0
		.amdhsa_next_free_vgpr 98
		.amdhsa_next_free_sgpr 14
		.amdhsa_reserve_vcc 1
		.amdhsa_reserve_flat_scratch 0
		.amdhsa_float_round_mode_32 0
		.amdhsa_float_round_mode_16_64 0
		.amdhsa_float_denorm_mode_32 3
		.amdhsa_float_denorm_mode_16_64 3
		.amdhsa_dx10_clamp 1
		.amdhsa_ieee_mode 1
		.amdhsa_fp16_overflow 0
		.amdhsa_workgroup_processor_mode 1
		.amdhsa_memory_ordered 1
		.amdhsa_forward_progress 0
		.amdhsa_shared_vgpr_count 0
		.amdhsa_exception_fp_ieee_invalid_op 0
		.amdhsa_exception_fp_denorm_src 0
		.amdhsa_exception_fp_ieee_div_zero 0
		.amdhsa_exception_fp_ieee_overflow 0
		.amdhsa_exception_fp_ieee_underflow 0
		.amdhsa_exception_fp_ieee_inexact 0
		.amdhsa_exception_int_div_zero 0
	.end_amdhsa_kernel
	.text
.Lfunc_end0:
	.size	bluestein_single_back_len33_dim1_sp_op_CI_CI, .Lfunc_end0-bluestein_single_back_len33_dim1_sp_op_CI_CI
                                        ; -- End function
	.section	.AMDGPU.csdata,"",@progbits
; Kernel info:
; codeLenInByte = 7336
; NumSgprs: 16
; NumVgprs: 98
; ScratchSize: 0
; MemoryBound: 0
; FloatMode: 240
; IeeeMode: 1
; LDSByteSize: 6072 bytes/workgroup (compile time only)
; SGPRBlocks: 1
; VGPRBlocks: 12
; NumSGPRsForWavesPerEU: 16
; NumVGPRsForWavesPerEU: 98
; Occupancy: 9
; WaveLimiterHint : 1
; COMPUTE_PGM_RSRC2:SCRATCH_EN: 0
; COMPUTE_PGM_RSRC2:USER_SGPR: 6
; COMPUTE_PGM_RSRC2:TRAP_HANDLER: 0
; COMPUTE_PGM_RSRC2:TGID_X_EN: 1
; COMPUTE_PGM_RSRC2:TGID_Y_EN: 0
; COMPUTE_PGM_RSRC2:TGID_Z_EN: 0
; COMPUTE_PGM_RSRC2:TIDIG_COMP_CNT: 0
	.text
	.p2alignl 6, 3214868480
	.fill 48, 4, 3214868480
	.type	__hip_cuid_ce9215fe60f2edb2,@object ; @__hip_cuid_ce9215fe60f2edb2
	.section	.bss,"aw",@nobits
	.globl	__hip_cuid_ce9215fe60f2edb2
__hip_cuid_ce9215fe60f2edb2:
	.byte	0                               ; 0x0
	.size	__hip_cuid_ce9215fe60f2edb2, 1

	.ident	"AMD clang version 19.0.0git (https://github.com/RadeonOpenCompute/llvm-project roc-6.4.0 25133 c7fe45cf4b819c5991fe208aaa96edf142730f1d)"
	.section	".note.GNU-stack","",@progbits
	.addrsig
	.addrsig_sym __hip_cuid_ce9215fe60f2edb2
	.amdgpu_metadata
---
amdhsa.kernels:
  - .args:
      - .actual_access:  read_only
        .address_space:  global
        .offset:         0
        .size:           8
        .value_kind:     global_buffer
      - .actual_access:  read_only
        .address_space:  global
        .offset:         8
        .size:           8
        .value_kind:     global_buffer
      - .actual_access:  read_only
        .address_space:  global
        .offset:         16
        .size:           8
        .value_kind:     global_buffer
      - .actual_access:  read_only
        .address_space:  global
        .offset:         24
        .size:           8
        .value_kind:     global_buffer
      - .actual_access:  read_only
        .address_space:  global
        .offset:         32
        .size:           8
        .value_kind:     global_buffer
      - .offset:         40
        .size:           8
        .value_kind:     by_value
      - .address_space:  global
        .offset:         48
        .size:           8
        .value_kind:     global_buffer
      - .address_space:  global
        .offset:         56
        .size:           8
        .value_kind:     global_buffer
      - .address_space:  global
        .offset:         64
        .size:           8
        .value_kind:     global_buffer
      - .address_space:  global
        .offset:         72
        .size:           8
        .value_kind:     global_buffer
      - .offset:         80
        .size:           4
        .value_kind:     by_value
      - .address_space:  global
        .offset:         88
        .size:           8
        .value_kind:     global_buffer
      - .address_space:  global
        .offset:         96
        .size:           8
        .value_kind:     global_buffer
    .group_segment_fixed_size: 6072
    .kernarg_segment_align: 8
    .kernarg_segment_size: 104
    .language:       OpenCL C
    .language_version:
      - 2
      - 0
    .max_flat_workgroup_size: 253
    .name:           bluestein_single_back_len33_dim1_sp_op_CI_CI
    .private_segment_fixed_size: 0
    .sgpr_count:     16
    .sgpr_spill_count: 0
    .symbol:         bluestein_single_back_len33_dim1_sp_op_CI_CI.kd
    .uniform_work_group_size: 1
    .uses_dynamic_stack: false
    .vgpr_count:     98
    .vgpr_spill_count: 0
    .wavefront_size: 32
    .workgroup_processor_mode: 1
amdhsa.target:   amdgcn-amd-amdhsa--gfx1030
amdhsa.version:
  - 1
  - 2
...

	.end_amdgpu_metadata
